;; amdgpu-corpus repo=ROCm/rocFFT kind=compiled arch=gfx906 opt=O3
	.text
	.amdgcn_target "amdgcn-amd-amdhsa--gfx906"
	.amdhsa_code_object_version 6
	.protected	fft_rtc_back_len715_factors_13_5_11_wgs_195_tpt_65_halfLds_sp_ip_CI_unitstride_sbrr_dirReg ; -- Begin function fft_rtc_back_len715_factors_13_5_11_wgs_195_tpt_65_halfLds_sp_ip_CI_unitstride_sbrr_dirReg
	.globl	fft_rtc_back_len715_factors_13_5_11_wgs_195_tpt_65_halfLds_sp_ip_CI_unitstride_sbrr_dirReg
	.p2align	8
	.type	fft_rtc_back_len715_factors_13_5_11_wgs_195_tpt_65_halfLds_sp_ip_CI_unitstride_sbrr_dirReg,@function
fft_rtc_back_len715_factors_13_5_11_wgs_195_tpt_65_halfLds_sp_ip_CI_unitstride_sbrr_dirReg: ; @fft_rtc_back_len715_factors_13_5_11_wgs_195_tpt_65_halfLds_sp_ip_CI_unitstride_sbrr_dirReg
; %bb.0:
	v_mul_u32_u24_e32 v1, 0x3f1, v0
	s_load_dwordx2 s[12:13], s[4:5], 0x50
	s_load_dwordx4 s[8:11], s[4:5], 0x0
	s_load_dwordx2 s[2:3], s[4:5], 0x18
	v_lshrrev_b32_e32 v1, 16, v1
	v_mad_u64_u32 v[6:7], s[0:1], s6, 3, v[1:2]
	v_mov_b32_e32 v3, 0
	s_waitcnt lgkmcnt(0)
	v_cmp_lt_u64_e64 s[0:1], s[10:11], 2
	v_mov_b32_e32 v7, v3
	v_mov_b32_e32 v1, 0
	;; [unrolled: 1-line block ×3, first 2 shown]
	s_and_b64 vcc, exec, s[0:1]
	v_mov_b32_e32 v2, 0
	v_mov_b32_e32 v5, v7
	s_cbranch_vccnz .LBB0_8
; %bb.1:
	s_load_dwordx2 s[0:1], s[4:5], 0x10
	s_add_u32 s6, s2, 8
	s_addc_u32 s7, s3, 0
	v_mov_b32_e32 v1, 0
	v_mov_b32_e32 v8, v7
	s_waitcnt lgkmcnt(0)
	s_add_u32 s16, s0, 8
	s_mov_b64 s[14:15], 1
	v_mov_b32_e32 v2, 0
	s_addc_u32 s17, s1, 0
	v_mov_b32_e32 v7, v6
.LBB0_2:                                ; =>This Inner Loop Header: Depth=1
	s_load_dwordx2 s[18:19], s[16:17], 0x0
	s_waitcnt lgkmcnt(0)
	v_or_b32_e32 v4, s19, v8
	v_cmp_ne_u64_e32 vcc, 0, v[3:4]
                                        ; implicit-def: $vgpr4_vgpr5
	s_and_saveexec_b64 s[0:1], vcc
	s_xor_b64 s[20:21], exec, s[0:1]
	s_cbranch_execz .LBB0_4
; %bb.3:                                ;   in Loop: Header=BB0_2 Depth=1
	v_cvt_f32_u32_e32 v4, s18
	v_cvt_f32_u32_e32 v5, s19
	s_sub_u32 s0, 0, s18
	s_subb_u32 s1, 0, s19
	v_mac_f32_e32 v4, 0x4f800000, v5
	v_rcp_f32_e32 v4, v4
	v_mul_f32_e32 v4, 0x5f7ffffc, v4
	v_mul_f32_e32 v5, 0x2f800000, v4
	v_trunc_f32_e32 v5, v5
	v_mac_f32_e32 v4, 0xcf800000, v5
	v_cvt_u32_f32_e32 v5, v5
	v_cvt_u32_f32_e32 v4, v4
	v_mul_lo_u32 v9, s0, v5
	v_mul_hi_u32 v10, s0, v4
	v_mul_lo_u32 v12, s1, v4
	v_mul_lo_u32 v11, s0, v4
	v_add_u32_e32 v9, v10, v9
	v_add_u32_e32 v9, v9, v12
	v_mul_hi_u32 v10, v4, v11
	v_mul_lo_u32 v12, v4, v9
	v_mul_hi_u32 v14, v4, v9
	v_mul_hi_u32 v13, v5, v11
	v_mul_lo_u32 v11, v5, v11
	v_mul_hi_u32 v15, v5, v9
	v_add_co_u32_e32 v10, vcc, v10, v12
	v_addc_co_u32_e32 v12, vcc, 0, v14, vcc
	v_mul_lo_u32 v9, v5, v9
	v_add_co_u32_e32 v10, vcc, v10, v11
	v_addc_co_u32_e32 v10, vcc, v12, v13, vcc
	v_addc_co_u32_e32 v11, vcc, 0, v15, vcc
	v_add_co_u32_e32 v9, vcc, v10, v9
	v_addc_co_u32_e32 v10, vcc, 0, v11, vcc
	v_add_co_u32_e32 v4, vcc, v4, v9
	v_addc_co_u32_e32 v5, vcc, v5, v10, vcc
	v_mul_lo_u32 v9, s0, v5
	v_mul_hi_u32 v10, s0, v4
	v_mul_lo_u32 v11, s1, v4
	v_mul_lo_u32 v12, s0, v4
	v_add_u32_e32 v9, v10, v9
	v_add_u32_e32 v9, v9, v11
	v_mul_lo_u32 v13, v4, v9
	v_mul_hi_u32 v14, v4, v12
	v_mul_hi_u32 v15, v4, v9
	;; [unrolled: 1-line block ×3, first 2 shown]
	v_mul_lo_u32 v12, v5, v12
	v_mul_hi_u32 v10, v5, v9
	v_add_co_u32_e32 v13, vcc, v14, v13
	v_addc_co_u32_e32 v14, vcc, 0, v15, vcc
	v_mul_lo_u32 v9, v5, v9
	v_add_co_u32_e32 v12, vcc, v13, v12
	v_addc_co_u32_e32 v11, vcc, v14, v11, vcc
	v_addc_co_u32_e32 v10, vcc, 0, v10, vcc
	v_add_co_u32_e32 v9, vcc, v11, v9
	v_addc_co_u32_e32 v10, vcc, 0, v10, vcc
	v_add_co_u32_e32 v9, vcc, v4, v9
	v_addc_co_u32_e32 v10, vcc, v5, v10, vcc
	v_mad_u64_u32 v[4:5], s[0:1], v7, v10, 0
	v_mul_hi_u32 v11, v7, v9
	v_add_co_u32_e32 v11, vcc, v11, v4
	v_addc_co_u32_e32 v12, vcc, 0, v5, vcc
	v_mad_u64_u32 v[4:5], s[0:1], v8, v9, 0
	v_mad_u64_u32 v[9:10], s[0:1], v8, v10, 0
	v_add_co_u32_e32 v4, vcc, v11, v4
	v_addc_co_u32_e32 v4, vcc, v12, v5, vcc
	v_addc_co_u32_e32 v5, vcc, 0, v10, vcc
	v_add_co_u32_e32 v9, vcc, v4, v9
	v_addc_co_u32_e32 v10, vcc, 0, v5, vcc
	v_mul_lo_u32 v11, s19, v9
	v_mul_lo_u32 v12, s18, v10
	v_mad_u64_u32 v[4:5], s[0:1], s18, v9, 0
	v_add3_u32 v5, v5, v12, v11
	v_sub_u32_e32 v11, v8, v5
	v_mov_b32_e32 v12, s19
	v_sub_co_u32_e32 v4, vcc, v7, v4
	v_subb_co_u32_e64 v11, s[0:1], v11, v12, vcc
	v_subrev_co_u32_e64 v12, s[0:1], s18, v4
	v_subbrev_co_u32_e64 v11, s[0:1], 0, v11, s[0:1]
	v_cmp_le_u32_e64 s[0:1], s19, v11
	v_cndmask_b32_e64 v13, 0, -1, s[0:1]
	v_cmp_le_u32_e64 s[0:1], s18, v12
	v_cndmask_b32_e64 v12, 0, -1, s[0:1]
	v_cmp_eq_u32_e64 s[0:1], s19, v11
	v_cndmask_b32_e64 v11, v13, v12, s[0:1]
	v_add_co_u32_e64 v12, s[0:1], 2, v9
	v_addc_co_u32_e64 v13, s[0:1], 0, v10, s[0:1]
	v_add_co_u32_e64 v14, s[0:1], 1, v9
	v_addc_co_u32_e64 v15, s[0:1], 0, v10, s[0:1]
	v_subb_co_u32_e32 v5, vcc, v8, v5, vcc
	v_cmp_ne_u32_e64 s[0:1], 0, v11
	v_cmp_le_u32_e32 vcc, s19, v5
	v_cndmask_b32_e64 v11, v15, v13, s[0:1]
	v_cndmask_b32_e64 v13, 0, -1, vcc
	v_cmp_le_u32_e32 vcc, s18, v4
	v_cndmask_b32_e64 v4, 0, -1, vcc
	v_cmp_eq_u32_e32 vcc, s19, v5
	v_cndmask_b32_e32 v4, v13, v4, vcc
	v_cmp_ne_u32_e32 vcc, 0, v4
	v_cndmask_b32_e64 v4, v14, v12, s[0:1]
	v_cndmask_b32_e32 v5, v10, v11, vcc
	v_cndmask_b32_e32 v4, v9, v4, vcc
.LBB0_4:                                ;   in Loop: Header=BB0_2 Depth=1
	s_andn2_saveexec_b64 s[0:1], s[20:21]
	s_cbranch_execz .LBB0_6
; %bb.5:                                ;   in Loop: Header=BB0_2 Depth=1
	v_cvt_f32_u32_e32 v4, s18
	s_sub_i32 s20, 0, s18
	v_rcp_iflag_f32_e32 v4, v4
	v_mul_f32_e32 v4, 0x4f7ffffe, v4
	v_cvt_u32_f32_e32 v4, v4
	v_mul_lo_u32 v5, s20, v4
	v_mul_hi_u32 v5, v4, v5
	v_add_u32_e32 v4, v4, v5
	v_mul_hi_u32 v4, v7, v4
	v_mul_lo_u32 v5, v4, s18
	v_add_u32_e32 v9, 1, v4
	v_sub_u32_e32 v5, v7, v5
	v_subrev_u32_e32 v10, s18, v5
	v_cmp_le_u32_e32 vcc, s18, v5
	v_cndmask_b32_e32 v5, v5, v10, vcc
	v_cndmask_b32_e32 v4, v4, v9, vcc
	v_add_u32_e32 v9, 1, v4
	v_cmp_le_u32_e32 vcc, s18, v5
	v_cndmask_b32_e32 v4, v4, v9, vcc
	v_mov_b32_e32 v5, v3
.LBB0_6:                                ;   in Loop: Header=BB0_2 Depth=1
	s_or_b64 exec, exec, s[0:1]
	v_mul_lo_u32 v11, v5, s18
	v_mul_lo_u32 v12, v4, s19
	v_mad_u64_u32 v[9:10], s[0:1], v4, s18, 0
	s_load_dwordx2 s[0:1], s[6:7], 0x0
	s_add_u32 s14, s14, 1
	v_add3_u32 v10, v10, v12, v11
	v_sub_co_u32_e32 v7, vcc, v7, v9
	v_subb_co_u32_e32 v8, vcc, v8, v10, vcc
	s_waitcnt lgkmcnt(0)
	v_mul_lo_u32 v8, s0, v8
	v_mul_lo_u32 v9, s1, v7
	v_mad_u64_u32 v[1:2], s[0:1], s0, v7, v[1:2]
	s_addc_u32 s15, s15, 0
	s_add_u32 s6, s6, 8
	v_add3_u32 v2, v9, v2, v8
	v_mov_b32_e32 v7, s10
	v_mov_b32_e32 v8, s11
	s_addc_u32 s7, s7, 0
	v_cmp_ge_u64_e32 vcc, s[14:15], v[7:8]
	s_add_u32 s16, s16, 8
	s_addc_u32 s17, s17, 0
	s_cbranch_vccnz .LBB0_8
; %bb.7:                                ;   in Loop: Header=BB0_2 Depth=1
	v_mov_b32_e32 v8, v5
	v_mov_b32_e32 v7, v4
	s_branch .LBB0_2
.LBB0_8:
	s_lshl_b64 s[0:1], s[10:11], 3
	s_add_u32 s0, s2, s0
	s_addc_u32 s1, s3, s1
	s_load_dwordx2 s[2:3], s[0:1], 0x0
	s_load_dwordx2 s[6:7], s[4:5], 0x20
                                        ; implicit-def: $vgpr13
                                        ; implicit-def: $vgpr15
                                        ; implicit-def: $vgpr17
                                        ; implicit-def: $vgpr35
                                        ; implicit-def: $vgpr27
                                        ; implicit-def: $vgpr19
                                        ; implicit-def: $vgpr33
                                        ; implicit-def: $vgpr31
                                        ; implicit-def: $vgpr29
                                        ; implicit-def: $vgpr25
                                        ; implicit-def: $vgpr23
                                        ; implicit-def: $vgpr21
	s_waitcnt lgkmcnt(0)
	v_mad_u64_u32 v[1:2], s[0:1], s2, v4, v[1:2]
	s_mov_b32 s0, 0x3f03f04
	v_mul_lo_u32 v3, s2, v5
	v_mul_lo_u32 v7, s3, v4
	v_mul_hi_u32 v8, v0, s0
	v_cmp_gt_u64_e64 s[0:1], s[6:7], v[4:5]
	v_add3_u32 v2, v7, v2, v3
	v_mul_u32_u24_e32 v3, 0x41, v8
	v_sub_u32_e32 v4, v0, v3
	v_mov_b32_e32 v8, 0
	v_mov_b32_e32 v3, 0
	v_mov_b32_e32 v7, 0
	s_and_saveexec_b64 s[2:3], s[0:1]
	s_cbranch_execz .LBB0_12
; %bb.9:
	v_cmp_gt_u32_e32 vcc, 55, v4
	v_mov_b32_e32 v7, 0
	v_mov_b32_e32 v8, 0
                                        ; implicit-def: $vgpr20
                                        ; implicit-def: $vgpr22
                                        ; implicit-def: $vgpr24
                                        ; implicit-def: $vgpr28
                                        ; implicit-def: $vgpr30
                                        ; implicit-def: $vgpr32
                                        ; implicit-def: $vgpr18
                                        ; implicit-def: $vgpr26
                                        ; implicit-def: $vgpr34
                                        ; implicit-def: $vgpr16
                                        ; implicit-def: $vgpr14
                                        ; implicit-def: $vgpr12
	s_and_saveexec_b64 s[4:5], vcc
	s_cbranch_execz .LBB0_11
; %bb.10:
	v_lshlrev_b64 v[7:8], 3, v[1:2]
	v_mov_b32_e32 v5, 0
	v_mov_b32_e32 v0, s13
	v_add_co_u32_e32 v3, vcc, s12, v7
	v_addc_co_u32_e32 v0, vcc, v0, v8, vcc
	v_lshlrev_b64 v[7:8], 3, v[4:5]
	v_add_co_u32_e32 v9, vcc, v3, v7
	v_addc_co_u32_e32 v10, vcc, v0, v8, vcc
	v_add_co_u32_e32 v36, vcc, 0x1000, v9
	global_load_dwordx2 v[7:8], v[9:10], off
	global_load_dwordx2 v[12:13], v[9:10], off offset:440
	global_load_dwordx2 v[14:15], v[9:10], off offset:880
	;; [unrolled: 1-line block ×3, first 2 shown]
	v_addc_co_u32_e32 v37, vcc, 0, v10, vcc
	global_load_dwordx2 v[34:35], v[9:10], off offset:1760
	global_load_dwordx2 v[26:27], v[9:10], off offset:2200
	;; [unrolled: 1-line block ×9, first 2 shown]
.LBB0_11:
	s_or_b64 exec, exec, s[4:5]
	v_mov_b32_e32 v3, v4
.LBB0_12:
	s_or_b64 exec, exec, s[2:3]
	s_mov_b32 s2, 0xaaaaaaab
	v_mul_hi_u32 v0, v6, s2
	s_waitcnt vmcnt(0)
	v_sub_f32_e32 v39, v13, v33
	s_mov_b32 s2, 0x3f116cb1
	v_add_f32_e32 v47, v12, v32
	v_lshrrev_b32_e32 v0, 1, v0
	v_mul_f32_e32 v10, 0xbf52af12, v39
	v_sub_f32_e32 v42, v15, v31
	v_lshl_add_u32 v0, v0, 1, v0
	v_fma_f32 v5, v47, s2, -v10
	s_mov_b32 s3, 0xbeb58ec6
	v_add_f32_e32 v59, v14, v30
	v_mul_f32_e32 v11, 0xbf6f5d39, v42
	v_sub_u32_e32 v0, v6, v0
	v_add_f32_e32 v5, v7, v5
	v_fma_f32 v6, v59, s3, -v11
	s_mov_b32 s4, 0x3df6dbef
	v_mul_f32_e32 v37, 0xbf7e222b, v39
	v_add_f32_e32 v5, v5, v6
	v_fma_f32 v6, v47, s4, -v37
	s_mov_b32 s5, 0xbf788fa5
	v_mul_f32_e32 v38, 0xbe750f2a, v42
	v_sub_f32_e32 v44, v17, v29
	v_add_f32_e32 v6, v7, v6
	v_fma_f32 v9, v59, s5, -v38
	v_add_f32_e32 v55, v16, v28
	v_mul_f32_e32 v36, 0xbe750f2a, v44
	v_add_f32_e32 v6, v6, v9
	v_fma_f32 v9, v55, s5, -v36
	v_mul_f32_e32 v41, 0x3f6f5d39, v44
	v_sub_f32_e32 v53, v35, v25
	v_add_f32_e32 v5, v5, v9
	v_fma_f32 v9, v55, s3, -v41
	s_mov_b32 s6, 0xbf3f9e67
	v_add_f32_e32 v60, v34, v24
	v_mul_f32_e32 v40, 0x3f29c268, v53
	v_add_f32_e32 v6, v6, v9
	v_fma_f32 v9, v60, s6, -v40
	s_mov_b32 s7, 0x3f62ad3f
	v_mul_f32_e32 v45, 0x3eedf032, v53
	v_sub_f32_e32 v57, v27, v23
	v_add_f32_e32 v5, v5, v9
	v_fma_f32 v9, v60, s7, -v45
	v_add_f32_e32 v61, v26, v22
	v_mul_f32_e32 v43, 0x3f7e222b, v57
	v_add_f32_e32 v6, v6, v9
	v_fma_f32 v9, v61, s4, -v43
	v_mul_f32_e32 v51, 0xbf52af12, v57
	v_sub_f32_e32 v62, v19, v21
	v_add_f32_e32 v5, v5, v9
	v_fma_f32 v9, v61, s2, -v51
	v_add_f32_e32 v63, v18, v20
	v_mul_f32_e32 v46, 0x3eedf032, v62
	v_add_f32_e32 v9, v6, v9
	v_fma_f32 v6, v63, s7, -v46
	v_mul_f32_e32 v58, 0xbf29c268, v62
	v_add_f32_e32 v6, v5, v6
	v_fma_f32 v5, v63, s6, -v58
	;; [unrolled: 3-line block ×4, first 2 shown]
	v_add_f32_e32 v9, v9, v50
	v_mul_f32_e32 v50, 0xbf7e222b, v44
	v_fma_f32 v52, v55, s4, -v50
	v_add_f32_e32 v9, v9, v52
	v_mul_f32_e32 v52, 0xbf6f5d39, v53
	v_fma_f32 v54, v60, s3, -v52
	v_add_f32_e32 v9, v9, v54
	v_mul_f32_e32 v54, 0xbf29c268, v57
	v_fma_f32 v56, v61, s6, -v54
	v_add_f32_e32 v9, v9, v56
	v_mul_f32_e32 v56, 0xbe750f2a, v62
	v_mul_u32_u24_e32 v0, 0x2cb, v0
	v_fma_f32 v64, v63, s5, -v56
	v_add_f32_e32 v9, v9, v64
	v_cmp_gt_u32_e64 s[2:3], 55, v4
	v_lshlrev_b32_e32 v0, 2, v0
	s_and_saveexec_b64 s[4:5], s[2:3]
	s_cbranch_execz .LBB0_14
; %bb.13:
	v_mul_f32_e32 v71, 0xbf788fa5, v47
	v_mov_b32_e32 v72, v71
	v_mul_f32_e32 v73, 0x3f62ad3f, v59
	v_fmac_f32_e32 v72, 0x3e750f2a, v39
	v_mov_b32_e32 v74, v73
	v_add_f32_e32 v72, v7, v72
	v_fmac_f32_e32 v74, 0xbeedf032, v42
	v_add_f32_e32 v72, v72, v74
	v_mul_f32_e32 v74, 0xbf3f9e67, v55
	v_mov_b32_e32 v75, v74
	v_fmac_f32_e32 v75, 0x3f29c268, v44
	v_add_f32_e32 v72, v72, v75
	v_mul_f32_e32 v75, 0x3f116cb1, v60
	v_fmac_f32_e32 v71, 0xbe750f2a, v39
	v_mov_b32_e32 v76, v75
	v_add_f32_e32 v71, v7, v71
	v_fmac_f32_e32 v73, 0x3eedf032, v42
	v_fmac_f32_e32 v76, 0xbf52af12, v53
	v_add_f32_e32 v71, v71, v73
	v_fmac_f32_e32 v74, 0xbf29c268, v44
	v_add_f32_e32 v72, v72, v76
	v_mul_f32_e32 v76, 0xbeb58ec6, v61
	v_add_f32_e32 v71, v71, v74
	v_fmac_f32_e32 v75, 0x3f52af12, v53
	v_mul_f32_e32 v73, 0xbf3f9e67, v47
	v_mov_b32_e32 v77, v76
	v_add_f32_e32 v71, v71, v75
	v_fmac_f32_e32 v76, 0xbf6f5d39, v57
	v_mov_b32_e32 v74, v73
	v_mul_f32_e32 v75, 0x3df6dbef, v59
	v_fmac_f32_e32 v77, 0x3f6f5d39, v57
	v_add_f32_e32 v71, v71, v76
	v_fmac_f32_e32 v74, 0x3f29c268, v39
	v_mov_b32_e32 v76, v75
	v_add_f32_e32 v72, v72, v77
	v_mul_f32_e32 v77, 0x3df6dbef, v63
	v_add_f32_e32 v74, v7, v74
	v_fmac_f32_e32 v76, 0xbf7e222b, v42
	v_fmac_f32_e32 v73, 0xbf29c268, v39
	v_mul_f32_e32 v64, 0x3f62ad3f, v47
	v_mul_f32_e32 v65, 0x3f116cb1, v47
	;; [unrolled: 1-line block ×3, first 2 shown]
	v_mov_b32_e32 v78, v77
	v_fmac_f32_e32 v77, 0x3f7e222b, v62
	v_add_f32_e32 v74, v74, v76
	v_mul_f32_e32 v76, 0x3f116cb1, v55
	v_add_f32_e32 v73, v7, v73
	v_fmac_f32_e32 v75, 0x3f7e222b, v42
	v_mul_f32_e32 v47, 0xbeb58ec6, v47
	v_mul_f32_e32 v67, 0x3f116cb1, v59
	;; [unrolled: 1-line block ×4, first 2 shown]
	v_add_f32_e32 v71, v71, v77
	v_mov_b32_e32 v77, v76
	v_add_f32_e32 v73, v73, v75
	v_fmac_f32_e32 v76, 0xbf52af12, v44
	v_mov_b32_e32 v75, v47
	v_mul_f32_e32 v59, 0xbf3f9e67, v59
	v_fmac_f32_e32 v77, 0x3f52af12, v44
	v_add_f32_e32 v73, v73, v76
	v_fmac_f32_e32 v75, 0x3f6f5d39, v39
	v_mov_b32_e32 v76, v59
	v_fmac_f32_e32 v78, 0xbf7e222b, v62
	v_add_f32_e32 v74, v74, v77
	v_mul_f32_e32 v77, 0xbf788fa5, v60
	v_add_f32_e32 v75, v7, v75
	v_fmac_f32_e32 v76, 0xbf29c268, v42
	v_add_f32_e32 v72, v72, v78
	v_mov_b32_e32 v78, v77
	v_fmac_f32_e32 v77, 0x3e750f2a, v53
	v_add_f32_e32 v75, v75, v76
	v_mul_f32_e32 v76, 0x3f62ad3f, v55
	v_fmac_f32_e32 v78, 0xbe750f2a, v53
	v_add_f32_e32 v73, v73, v77
	v_mov_b32_e32 v77, v76
	v_add_f32_e32 v74, v74, v78
	v_mul_f32_e32 v78, 0x3f62ad3f, v61
	v_fmac_f32_e32 v77, 0xbeedf032, v44
	v_mov_b32_e32 v79, v78
	v_fmac_f32_e32 v78, 0x3eedf032, v57
	v_add_f32_e32 v75, v75, v77
	v_mul_f32_e32 v77, 0x3df6dbef, v60
	v_fmac_f32_e32 v79, 0xbeedf032, v57
	v_add_f32_e32 v73, v73, v78
	v_mov_b32_e32 v78, v77
	v_add_f32_e32 v74, v74, v79
	v_mul_f32_e32 v79, 0xbeb58ec6, v63
	v_fmac_f32_e32 v78, 0x3f7e222b, v53
	v_mov_b32_e32 v80, v79
	v_fmac_f32_e32 v79, 0xbf6f5d39, v62
	v_add_f32_e32 v75, v75, v78
	v_mul_f32_e32 v78, 0xbf788fa5, v61
	v_add_f32_e32 v73, v73, v79
	v_mov_b32_e32 v79, v78
	v_fmac_f32_e32 v79, 0xbe750f2a, v57
	v_fmac_f32_e32 v80, 0x3f6f5d39, v62
	v_add_f32_e32 v75, v75, v79
	v_mul_f32_e32 v79, 0x3f116cb1, v63
	v_add_f32_e32 v74, v74, v80
	v_mov_b32_e32 v80, v79
	v_fmac_f32_e32 v80, 0xbf52af12, v62
	v_add_f32_e32 v10, v10, v65
	v_add_f32_e32 v75, v75, v80
	v_mul_f32_e32 v80, 0xbf788fa5, v55
	v_add_f32_e32 v10, v7, v10
	v_add_f32_e32 v11, v11, v68
	v_fmac_f32_e32 v59, 0x3f29c268, v42
	v_mul_f32_e32 v42, 0xbf3f9e67, v60
	v_add_f32_e32 v10, v10, v11
	v_add_f32_e32 v11, v36, v80
	v_fmac_f32_e32 v76, 0x3eedf032, v44
	;; [unrolled: 4-line block ×3, first 2 shown]
	v_mul_f32_e32 v53, 0x3f62ad3f, v63
	v_add_f32_e32 v10, v10, v11
	v_add_f32_e32 v11, v43, v44
	;; [unrolled: 1-line block ×4, first 2 shown]
	v_fmac_f32_e32 v47, 0xbf6f5d39, v39
	v_add_f32_e32 v37, v37, v66
	v_add_f32_e32 v10, v10, v11
	v_add_f32_e32 v11, v48, v64
	v_add_f32_e32 v47, v7, v47
	v_add_f32_e32 v37, v7, v37
	v_add_f32_e32 v11, v7, v11
	v_add_f32_e32 v7, v7, v12
	v_add_f32_e32 v7, v7, v14
	v_add_f32_e32 v7, v7, v16
	v_add_f32_e32 v7, v7, v34
	v_add_f32_e32 v7, v7, v26
	v_mul_f32_e32 v70, 0x3df6dbef, v55
	v_add_f32_e32 v36, v49, v67
	v_add_f32_e32 v7, v7, v18
	v_mul_f32_e32 v39, 0xbeb58ec6, v60
	v_add_f32_e32 v11, v11, v36
	v_add_f32_e32 v36, v50, v70
	;; [unrolled: 1-line block ×3, first 2 shown]
	v_mul_f32_e32 v55, 0xbeb58ec6, v55
	v_add_f32_e32 v47, v47, v59
	v_mul_f32_e32 v59, 0xbf3f9e67, v61
	v_add_f32_e32 v38, v38, v69
	v_add_f32_e32 v11, v11, v36
	;; [unrolled: 1-line block ×4, first 2 shown]
	v_mul_f32_e32 v60, 0x3f62ad3f, v60
	v_add_f32_e32 v47, v47, v76
	v_mul_f32_e32 v76, 0xbf788fa5, v63
	v_add_f32_e32 v37, v37, v38
	v_add_f32_e32 v38, v41, v55
	;; [unrolled: 1-line block ×5, first 2 shown]
	v_mul_f32_e32 v61, 0x3f116cb1, v61
	v_add_f32_e32 v37, v37, v38
	v_add_f32_e32 v38, v45, v60
	;; [unrolled: 1-line block ×5, first 2 shown]
	v_mul_f32_e32 v63, 0xbf3f9e67, v63
	v_add_f32_e32 v47, v47, v77
	v_fmac_f32_e32 v78, 0x3e750f2a, v57
	v_add_f32_e32 v37, v37, v38
	v_add_f32_e32 v38, v51, v61
	;; [unrolled: 1-line block ×4, first 2 shown]
	v_mul_u32_u24_e32 v36, 52, v4
	v_add_f32_e32 v47, v47, v78
	v_fmac_f32_e32 v79, 0x3f52af12, v62
	v_add_f32_e32 v37, v37, v38
	v_add_f32_e32 v38, v58, v63
	;; [unrolled: 1-line block ×3, first 2 shown]
	v_add3_u32 v36, 0, v36, v0
	v_add_f32_e32 v47, v47, v79
	v_add_f32_e32 v37, v37, v38
	ds_write2_b32 v36, v7, v11 offset1:1
	ds_write2_b32 v36, v10, v37 offset0:2 offset1:3
	ds_write2_b32 v36, v47, v73 offset0:4 offset1:5
	;; [unrolled: 1-line block ×5, first 2 shown]
	ds_write_b32 v36, v9 offset:48
.LBB0_14:
	s_or_b64 exec, exec, s[4:5]
	v_lshlrev_b32_e32 v7, 2, v4
	v_add3_u32 v45, 0, v0, v7
	v_add_u32_e32 v7, 0, v7
	v_add_u32_e32 v44, v7, v0
	;; [unrolled: 1-line block ×3, first 2 shown]
	s_waitcnt lgkmcnt(0)
	s_barrier
	v_add_u32_e32 v10, 0x200, v44
	ds_read2_b32 v[40:41], v11 offset0:95 offset1:173
	v_add_u32_e32 v11, 0x600, v44
	ds_read2_b32 v[36:37], v44 offset0:65 offset1:143
	ds_read2_b32 v[38:39], v10 offset0:80 offset1:158
	;; [unrolled: 1-line block ×3, first 2 shown]
	ds_read_b32 v46, v45
	ds_read_b32 v47, v44 offset:2548
	v_cmp_gt_u32_e32 vcc, 13, v4
                                        ; implicit-def: $vgpr48
	s_and_saveexec_b64 s[4:5], vcc
	s_cbranch_execz .LBB0_16
; %bb.15:
	ds_read2_b32 v[5:6], v10 offset0:2 offset1:145
	ds_read2_b32 v[9:10], v11 offset0:32 offset1:175
	ds_read_b32 v48, v44 offset:2808
.LBB0_16:
	s_or_b64 exec, exec, s[4:5]
	v_sub_f32_e32 v59, v12, v32
	v_mul_f32_e32 v66, 0xbeedf032, v59
	v_sub_f32_e32 v54, v14, v30
	v_add_f32_e32 v56, v13, v33
	v_mov_b32_e32 v11, v66
	v_mul_f32_e32 v63, 0xbf52af12, v54
	v_sub_f32_e32 v50, v16, v28
	v_fmac_f32_e32 v11, 0x3f62ad3f, v56
	v_mul_f32_e32 v67, 0xbf52af12, v59
	v_add_f32_e32 v52, v15, v31
	v_mov_b32_e32 v14, v63
	v_mul_f32_e32 v60, 0xbf7e222b, v50
	v_add_f32_e32 v11, v8, v11
	v_mov_b32_e32 v12, v67
	v_fmac_f32_e32 v14, 0x3f116cb1, v52
	v_mul_f32_e32 v64, 0xbf6f5d39, v54
	v_add_f32_e32 v49, v17, v29
	v_mov_b32_e32 v16, v60
	v_fmac_f32_e32 v12, 0x3f116cb1, v56
	v_mul_f32_e32 v68, 0xbf7e222b, v59
	v_add_f32_e32 v11, v11, v14
	v_mov_b32_e32 v14, v64
	v_fmac_f32_e32 v16, 0x3df6dbef, v49
	v_mul_f32_e32 v61, 0xbe750f2a, v50
	v_add_f32_e32 v12, v8, v12
	v_mov_b32_e32 v32, v68
	v_fmac_f32_e32 v14, 0xbeb58ec6, v52
	v_mul_f32_e32 v65, 0xbe750f2a, v54
	v_add_f32_e32 v11, v11, v16
	v_mov_b32_e32 v16, v61
	v_fmac_f32_e32 v32, 0x3df6dbef, v56
	v_add_f32_e32 v12, v12, v14
	v_mov_b32_e32 v14, v65
	v_fmac_f32_e32 v16, 0xbf788fa5, v49
	v_mul_f32_e32 v62, 0x3f6f5d39, v50
	v_add_f32_e32 v32, v8, v32
	v_fmac_f32_e32 v14, 0xbf788fa5, v52
	v_add_f32_e32 v12, v12, v16
	v_mov_b32_e32 v16, v62
	v_sub_f32_e32 v30, v34, v24
	v_add_f32_e32 v14, v32, v14
	v_fmac_f32_e32 v16, 0xbeb58ec6, v49
	v_mul_f32_e32 v55, 0xbf6f5d39, v30
	v_add_f32_e32 v14, v14, v16
	v_add_f32_e32 v28, v35, v25
	v_mov_b32_e32 v16, v55
	v_fmac_f32_e32 v16, 0xbeb58ec6, v28
	v_mul_f32_e32 v57, 0x3f29c268, v30
	v_add_f32_e32 v11, v11, v16
	v_mov_b32_e32 v16, v57
	v_fmac_f32_e32 v16, 0xbf3f9e67, v28
	v_mul_f32_e32 v58, 0x3eedf032, v30
	v_add_f32_e32 v12, v12, v16
	v_mov_b32_e32 v16, v58
	v_sub_f32_e32 v22, v26, v22
	v_fmac_f32_e32 v16, 0x3f62ad3f, v28
	v_mul_f32_e32 v34, 0xbf29c268, v22
	v_add_f32_e32 v14, v14, v16
	v_add_f32_e32 v24, v27, v23
	v_mov_b32_e32 v16, v34
	v_fmac_f32_e32 v16, 0xbf3f9e67, v24
	v_mul_f32_e32 v51, 0x3f7e222b, v22
	v_add_f32_e32 v11, v11, v16
	v_mov_b32_e32 v16, v51
	v_fmac_f32_e32 v16, 0x3df6dbef, v24
	v_mul_f32_e32 v53, 0xbf52af12, v22
	v_add_f32_e32 v12, v12, v16
	v_mov_b32_e32 v16, v53
	v_sub_f32_e32 v18, v18, v20
	v_fmac_f32_e32 v16, 0x3f116cb1, v24
	v_mul_f32_e32 v20, 0xbe750f2a, v18
	v_add_f32_e32 v69, v14, v16
	v_add_f32_e32 v16, v19, v21
	v_mov_b32_e32 v14, v20
	v_fmac_f32_e32 v14, 0xbf788fa5, v16
	v_mul_f32_e32 v26, 0x3eedf032, v18
	v_add_f32_e32 v14, v11, v14
	v_mov_b32_e32 v11, v26
	v_fmac_f32_e32 v11, 0x3f62ad3f, v16
	v_mul_f32_e32 v32, 0xbf29c268, v18
	v_add_f32_e32 v12, v12, v11
	v_mov_b32_e32 v11, v32
	v_fmac_f32_e32 v11, 0xbf3f9e67, v16
	s_mov_b32 s11, 0x3f62ad3f
	s_mov_b32 s7, 0x3f116cb1
	;; [unrolled: 1-line block ×6, first 2 shown]
	v_add_f32_e32 v11, v69, v11
	s_waitcnt lgkmcnt(0)
	s_barrier
	s_and_saveexec_b64 s[4:5], s[2:3]
	s_cbranch_execz .LBB0_18
; %bb.17:
	v_add_f32_e32 v13, v8, v13
	v_add_f32_e32 v13, v13, v15
	;; [unrolled: 1-line block ×9, first 2 shown]
	v_mul_f32_e32 v69, 0x3f62ad3f, v56
	v_add_f32_e32 v13, v29, v13
	v_mul_f32_e32 v70, 0x3f116cb1, v56
	v_mul_f32_e32 v72, 0x3f116cb1, v52
	v_add_f32_e32 v13, v31, v13
	v_sub_f32_e32 v19, v69, v66
	v_mul_f32_e32 v25, 0xbf6f5d39, v59
	v_mul_f32_e32 v31, 0xbf29c268, v59
	;; [unrolled: 1-line block ×5, first 2 shown]
	v_add_f32_e32 v13, v33, v13
	v_add_f32_e32 v19, v8, v19
	v_sub_f32_e32 v21, v70, v67
	v_fma_f32 v29, v56, s10, -v25
	v_fmac_f32_e32 v25, 0xbeb58ec6, v56
	v_fma_f32 v33, v56, s15, -v31
	v_fmac_f32_e32 v31, 0xbf3f9e67, v56
	;; [unrolled: 2-line block ×3, first 2 shown]
	v_sub_f32_e32 v56, v72, v63
	v_mul_f32_e32 v74, 0xbf788fa5, v52
	v_add_f32_e32 v21, v8, v21
	v_sub_f32_e32 v23, v71, v68
	v_add_f32_e32 v19, v19, v56
	v_sub_f32_e32 v56, v73, v64
	v_add_f32_e32 v23, v8, v23
	v_add_f32_e32 v21, v21, v56
	v_sub_f32_e32 v56, v74, v65
	v_add_f32_e32 v23, v23, v56
	v_mul_f32_e32 v56, 0x3f29c268, v54
	v_add_f32_e32 v29, v8, v29
	v_add_f32_e32 v25, v8, v25
	;; [unrolled: 1-line block ×6, first 2 shown]
	v_fma_f32 v59, v52, s15, -v56
	v_fmac_f32_e32 v56, 0xbf3f9e67, v52
	v_add_f32_e32 v25, v25, v56
	v_mul_f32_e32 v56, 0x3f7e222b, v54
	v_mul_f32_e32 v75, 0x3df6dbef, v49
	v_add_f32_e32 v29, v29, v59
	v_fma_f32 v59, v52, s6, -v56
	v_fmac_f32_e32 v56, 0x3df6dbef, v52
	v_mul_f32_e32 v54, 0x3eedf032, v54
	v_mul_f32_e32 v76, 0xbf788fa5, v49
	v_add_f32_e32 v31, v31, v56
	v_fma_f32 v56, v52, s11, -v54
	v_fmac_f32_e32 v54, 0x3f62ad3f, v52
	v_sub_f32_e32 v52, v75, v60
	v_mul_f32_e32 v77, 0xbeb58ec6, v49
	v_add_f32_e32 v19, v19, v52
	v_sub_f32_e32 v52, v76, v61
	v_add_f32_e32 v21, v21, v52
	v_sub_f32_e32 v52, v77, v62
	v_add_f32_e32 v23, v23, v52
	v_mul_f32_e32 v52, 0x3eedf032, v50
	v_add_f32_e32 v8, v8, v54
	v_fma_f32 v54, v49, s11, -v52
	v_fmac_f32_e32 v52, 0x3f62ad3f, v49
	v_mul_f32_e32 v15, 0xbf3f9e67, v28
	v_add_f32_e32 v25, v25, v52
	v_mul_f32_e32 v52, 0xbf52af12, v50
	v_mul_f32_e32 v78, 0xbeb58ec6, v28
	;; [unrolled: 1-line block ×3, first 2 shown]
	v_add_f32_e32 v29, v29, v54
	v_fma_f32 v54, v49, s7, -v52
	v_fmac_f32_e32 v52, 0x3f116cb1, v49
	v_mul_f32_e32 v50, 0xbf29c268, v50
	v_sub_f32_e32 v15, v15, v57
	v_mul_f32_e32 v17, 0xbf3f9e67, v24
	v_add_f32_e32 v31, v31, v52
	v_fma_f32 v52, v49, s15, -v50
	v_fmac_f32_e32 v50, 0xbf3f9e67, v49
	v_sub_f32_e32 v49, v78, v55
	v_add_f32_e32 v15, v21, v15
	v_sub_f32_e32 v21, v79, v58
	v_mul_f32_e32 v80, 0x3df6dbef, v24
	v_add_f32_e32 v19, v19, v49
	v_add_f32_e32 v21, v23, v21
	v_mul_f32_e32 v23, 0xbf7e222b, v30
	v_sub_f32_e32 v17, v17, v34
	v_mul_f32_e32 v35, 0x3f116cb1, v24
	v_fma_f32 v49, v28, s6, -v23
	v_fmac_f32_e32 v23, 0x3df6dbef, v28
	v_add_f32_e32 v17, v19, v17
	v_sub_f32_e32 v19, v80, v51
	v_add_f32_e32 v23, v25, v23
	v_mul_f32_e32 v25, 0x3e750f2a, v30
	v_add_f32_e32 v15, v15, v19
	v_sub_f32_e32 v19, v35, v53
	v_mul_f32_e32 v81, 0xbf788fa5, v16
	v_add_f32_e32 v29, v29, v49
	v_fma_f32 v49, v28, s14, -v25
	v_fmac_f32_e32 v25, 0xbf788fa5, v28
	v_mul_f32_e32 v30, 0x3f52af12, v30
	v_add_f32_e32 v19, v21, v19
	v_mul_f32_e32 v21, 0x3e750f2a, v22
	v_mul_f32_e32 v27, 0x3f62ad3f, v16
	v_add_f32_e32 v25, v31, v25
	v_fma_f32 v31, v28, s7, -v30
	v_fmac_f32_e32 v30, 0x3f116cb1, v28
	v_fma_f32 v28, v24, s14, -v21
	v_fmac_f32_e32 v21, 0xbf788fa5, v24
	v_sub_f32_e32 v20, v81, v20
	v_mul_f32_e32 v82, 0xbf3f9e67, v16
	v_add_f32_e32 v21, v23, v21
	v_mul_f32_e32 v23, 0x3eedf032, v22
	v_add_f32_e32 v17, v17, v20
	v_sub_f32_e32 v20, v27, v26
	v_add_f32_e32 v8, v8, v50
	v_add_f32_e32 v28, v29, v28
	v_fma_f32 v29, v24, s11, -v23
	v_fmac_f32_e32 v23, 0x3f62ad3f, v24
	v_mul_f32_e32 v22, 0xbf6f5d39, v22
	v_add_f32_e32 v15, v15, v20
	v_sub_f32_e32 v20, v82, v32
	v_add_f32_e32 v8, v8, v30
	v_add_f32_e32 v23, v25, v23
	v_fma_f32 v25, v24, s10, -v22
	v_fmac_f32_e32 v22, 0xbeb58ec6, v24
	v_add_f32_e32 v19, v19, v20
	v_mul_f32_e32 v20, 0x3f52af12, v18
	v_add_f32_e32 v8, v8, v22
	v_fma_f32 v22, v16, s7, -v20
	v_fmac_f32_e32 v20, 0x3f116cb1, v16
	v_add_f32_e32 v33, v33, v59
	v_add_f32_e32 v56, v66, v56
	;; [unrolled: 1-line block ×3, first 2 shown]
	v_mul_f32_e32 v21, 0xbf6f5d39, v18
	v_add_f32_e32 v33, v33, v54
	v_add_f32_e32 v52, v56, v52
	v_fma_f32 v24, v16, s10, -v21
	v_fmac_f32_e32 v21, 0xbeb58ec6, v16
	v_mul_f32_e32 v18, 0x3f7e222b, v18
	v_add_f32_e32 v33, v33, v49
	v_add_f32_e32 v31, v52, v31
	;; [unrolled: 1-line block ×3, first 2 shown]
	v_fma_f32 v23, v16, s6, -v18
	v_fmac_f32_e32 v18, 0x3df6dbef, v16
	v_mul_u32_u24_e32 v16, 48, v4
	v_add_f32_e32 v29, v33, v29
	v_add_f32_e32 v25, v31, v25
	v_add3_u32 v7, v7, v16, v0
	v_add_f32_e32 v22, v28, v22
	v_add_f32_e32 v24, v29, v24
	;; [unrolled: 1-line block ×4, first 2 shown]
	ds_write2_b32 v7, v13, v17 offset1:1
	ds_write2_b32 v7, v15, v19 offset0:2 offset1:3
	ds_write2_b32 v7, v22, v24 offset0:4 offset1:5
	;; [unrolled: 1-line block ×5, first 2 shown]
	ds_write_b32 v7, v14 offset:48
.LBB0_18:
	s_or_b64 exec, exec, s[4:5]
	v_add_u32_e32 v15, 0x400, v44
	s_waitcnt lgkmcnt(0)
	s_barrier
	v_add_u32_e32 v13, 0x200, v44
	ds_read2_b32 v[18:19], v15 offset0:95 offset1:173
	v_add_u32_e32 v15, 0x600, v44
	ds_read2_b32 v[7:8], v44 offset0:65 offset1:143
	ds_read2_b32 v[16:17], v13 offset0:80 offset1:158
	;; [unrolled: 1-line block ×3, first 2 shown]
	ds_read_b32 v22, v45
	ds_read_b32 v31, v44 offset:2548
                                        ; implicit-def: $vgpr50
	s_and_saveexec_b64 s[2:3], vcc
	s_cbranch_execz .LBB0_20
; %bb.19:
	ds_read2_b32 v[11:12], v13 offset0:2 offset1:145
	ds_read2_b32 v[14:15], v15 offset0:32 offset1:175
	ds_read_b32 v50, v44 offset:2808
.LBB0_20:
	s_or_b64 exec, exec, s[2:3]
	s_movk_i32 s2, 0x4f
	v_mul_lo_u16_sdwa v13, v4, s2 dst_sel:DWORD dst_unused:UNUSED_PAD src0_sel:BYTE_0 src1_sel:DWORD
	v_lshrrev_b16_e32 v75, 10, v13
	v_mul_lo_u16_e32 v13, 13, v75
	v_sub_u16_e32 v13, v4, v13
	v_mov_b32_e32 v24, 5
	v_lshlrev_b32_sdwa v23, v24, v13 dst_sel:DWORD dst_unused:UNUSED_PAD src0_sel:DWORD src1_sel:BYTE_0
	global_load_dwordx4 v[51:54], v23, s[8:9]
	global_load_dwordx4 v[55:58], v23, s[8:9] offset:16
	v_add_u16_e32 v23, 0x41, v4
	v_mul_lo_u16_sdwa v25, v23, s2 dst_sel:DWORD dst_unused:UNUSED_PAD src0_sel:BYTE_0 src1_sel:DWORD
	v_lshrrev_b16_e32 v76, 10, v25
	v_mul_lo_u16_e32 v25, 13, v76
	v_sub_u16_e32 v25, v23, v25
	v_lshlrev_b32_sdwa v23, v24, v25 dst_sel:DWORD dst_unused:UNUSED_PAD src0_sel:DWORD src1_sel:BYTE_0
	global_load_dwordx4 v[59:62], v23, s[8:9]
	global_load_dwordx4 v[63:66], v23, s[8:9] offset:16
	v_add_u16_e32 v23, 0x82, v4
	v_mul_lo_u16_sdwa v26, v23, s2 dst_sel:DWORD dst_unused:UNUSED_PAD src0_sel:BYTE_0 src1_sel:DWORD
	v_lshrrev_b16_e32 v26, 10, v26
	v_mul_lo_u16_e32 v26, 13, v26
	v_sub_u16_e32 v23, v23, v26
	v_lshlrev_b32_sdwa v24, v24, v23 dst_sel:DWORD dst_unused:UNUSED_PAD src0_sel:DWORD src1_sel:BYTE_0
	global_load_dwordx4 v[67:70], v24, s[8:9]
	global_load_dwordx4 v[71:74], v24, s[8:9] offset:16
	v_mov_b32_e32 v49, 2
	v_lshlrev_b32_sdwa v78, v49, v25 dst_sel:DWORD dst_unused:UNUSED_PAD src0_sel:DWORD src1_sel:BYTE_0
	v_lshlrev_b32_sdwa v77, v49, v13 dst_sel:DWORD dst_unused:UNUSED_PAD src0_sel:DWORD src1_sel:BYTE_0
	s_movk_i32 s2, 0x104
	s_waitcnt vmcnt(0) lgkmcnt(0)
	s_barrier
	v_mul_f32_e32 v32, v17, v54
	v_mul_f32_e32 v34, v19, v56
	;; [unrolled: 1-line block ×4, first 2 shown]
	v_fmac_f32_e32 v32, v39, v53
	v_fmac_f32_e32 v34, v41, v55
	v_mul_f32_e32 v52, v37, v52
	v_mul_f32_e32 v54, v39, v54
	;; [unrolled: 1-line block ×6, first 2 shown]
	v_fmac_f32_e32 v33, v37, v51
	v_fmac_f32_e32 v35, v43, v57
	v_mul_f32_e32 v25, v14, v70
	v_mul_f32_e32 v70, v9, v70
	;; [unrolled: 1-line block ×4, first 2 shown]
	v_fmac_f32_e32 v25, v9, v69
	v_add_f32_e32 v9, v32, v34
	v_fma_f32 v37, v8, v51, -v52
	v_fma_f32 v39, v17, v53, -v54
	v_fma_f32 v41, v19, v55, -v56
	v_fma_f32 v43, v21, v57, -v58
	v_fma_f32 v17, v20, v63, -v64
	v_fma_f32 v19, v14, v69, -v70
	v_fma_f32 v20, v15, v71, -v72
	v_sub_f32_e32 v14, v33, v32
	v_sub_f32_e32 v15, v35, v34
	v_fma_f32 v9, -0.5, v9, v46
	v_mul_f32_e32 v28, v16, v60
	v_mul_f32_e32 v60, v38, v60
	;; [unrolled: 1-line block ×6, first 2 shown]
	v_fmac_f32_e32 v26, v10, v71
	v_sub_f32_e32 v10, v37, v43
	v_add_f32_e32 v14, v14, v15
	v_mov_b32_e32 v15, v9
	v_fma_f32 v8, v16, v59, -v60
	v_fma_f32 v16, v18, v61, -v62
	v_fma_f32 v18, v12, v67, -v68
	v_sub_f32_e32 v12, v39, v41
	v_fmac_f32_e32 v9, 0x3f737871, v10
	v_fmac_f32_e32 v15, 0xbf737871, v10
	;; [unrolled: 1-line block ×6, first 2 shown]
	v_add_f32_e32 v14, v33, v35
	v_fmac_f32_e32 v24, v6, v67
	v_add_f32_e32 v6, v46, v33
	v_fmac_f32_e32 v46, -0.5, v14
	v_fmac_f32_e32 v13, v40, v61
	v_fmac_f32_e32 v29, v42, v63
	v_mov_b32_e32 v14, v46
	v_mul_f32_e32 v30, v31, v66
	v_mul_f32_e32 v66, v47, v66
	v_fmac_f32_e32 v28, v38, v59
	v_fmac_f32_e32 v14, 0x3f737871, v12
	v_sub_f32_e32 v38, v32, v33
	v_sub_f32_e32 v40, v34, v35
	v_fmac_f32_e32 v46, 0xbf737871, v12
	v_add_f32_e32 v12, v13, v29
	v_fma_f32 v31, v31, v65, -v66
	v_fmac_f32_e32 v14, 0xbf167918, v10
	v_add_f32_e32 v38, v38, v40
	v_fmac_f32_e32 v46, 0x3f167918, v10
	v_fma_f32 v12, -0.5, v12, v36
	v_mul_f32_e32 v27, v50, v74
	v_fmac_f32_e32 v30, v47, v65
	v_fmac_f32_e32 v14, 0x3e9e377a, v38
	;; [unrolled: 1-line block ×3, first 2 shown]
	v_sub_f32_e32 v38, v8, v31
	v_mov_b32_e32 v42, v12
	v_mul_f32_e32 v74, v48, v74
	v_fmac_f32_e32 v27, v48, v73
	v_fmac_f32_e32 v42, 0xbf737871, v38
	v_sub_f32_e32 v40, v16, v17
	v_sub_f32_e32 v47, v28, v13
	;; [unrolled: 1-line block ×3, first 2 shown]
	v_fmac_f32_e32 v12, 0x3f737871, v38
	v_fmac_f32_e32 v42, 0xbf167918, v40
	v_add_f32_e32 v47, v47, v48
	v_fmac_f32_e32 v12, 0x3f167918, v40
	v_fmac_f32_e32 v42, 0x3e9e377a, v47
	;; [unrolled: 1-line block ×3, first 2 shown]
	v_add_f32_e32 v47, v28, v30
	v_add_f32_e32 v10, v36, v28
	v_fmac_f32_e32 v36, -0.5, v47
	v_mov_b32_e32 v47, v36
	v_add_f32_e32 v6, v6, v32
	v_fmac_f32_e32 v47, 0x3f737871, v40
	v_fmac_f32_e32 v36, 0xbf737871, v40
	v_add_f32_e32 v6, v6, v34
	v_fmac_f32_e32 v47, 0xbf167918, v38
	v_fmac_f32_e32 v36, 0x3f167918, v38
	v_mad_u32_u24 v38, v75, s2, 0
	v_add_f32_e32 v6, v6, v35
	v_add_f32_e32 v10, v10, v13
	v_add3_u32 v38, v38, v77, v0
	v_fma_f32 v21, v50, v73, -v74
	v_add_f32_e32 v10, v10, v29
	v_sub_f32_e32 v48, v13, v28
	v_sub_f32_e32 v50, v29, v30
	ds_write2_b32 v38, v6, v15 offset1:13
	ds_write2_b32 v38, v14, v46 offset0:26 offset1:39
	ds_write_b32 v38, v9 offset:208
	v_mad_u32_u24 v6, v76, s2, 0
	v_add_f32_e32 v10, v10, v30
	v_add_f32_e32 v48, v48, v50
	v_add3_u32 v40, v6, v78, v0
	v_fmac_f32_e32 v47, 0x3e9e377a, v48
	v_fmac_f32_e32 v36, 0x3e9e377a, v48
	ds_write2_b32 v40, v10, v42 offset1:13
	ds_write2_b32 v40, v47, v36 offset0:26 offset1:39
	ds_write_b32 v40, v12 offset:208
	s_and_saveexec_b64 s[2:3], vcc
	s_cbranch_execz .LBB0_22
; %bb.21:
	v_add_f32_e32 v10, v24, v27
	v_fma_f32 v10, -0.5, v10, v5
	v_sub_f32_e32 v6, v25, v24
	v_sub_f32_e32 v9, v26, v27
	;; [unrolled: 1-line block ×3, first 2 shown]
	v_mov_b32_e32 v14, v10
	v_add_f32_e32 v6, v6, v9
	v_sub_f32_e32 v9, v18, v21
	v_fmac_f32_e32 v14, 0xbf737871, v12
	v_fmac_f32_e32 v10, 0x3f737871, v12
	;; [unrolled: 1-line block ×6, first 2 shown]
	v_sub_f32_e32 v6, v24, v25
	v_sub_f32_e32 v15, v27, v26
	v_add_f32_e32 v6, v6, v15
	v_add_f32_e32 v15, v25, v26
	v_fma_f32 v15, -0.5, v15, v5
	v_mov_b32_e32 v36, v15
	v_fmac_f32_e32 v36, 0x3f737871, v9
	v_fmac_f32_e32 v15, 0xbf737871, v9
	;; [unrolled: 1-line block ×4, first 2 shown]
	v_add_f32_e32 v5, v5, v24
	v_fmac_f32_e32 v36, 0x3e9e377a, v6
	v_fmac_f32_e32 v15, 0x3e9e377a, v6
	v_add_f32_e32 v5, v5, v25
	v_lshlrev_b32_sdwa v6, v49, v23 dst_sel:DWORD dst_unused:UNUSED_PAD src0_sel:DWORD src1_sel:BYTE_0
	v_add_f32_e32 v5, v5, v26
	v_add3_u32 v6, 0, v6, v0
	v_add_f32_e32 v5, v5, v27
	v_add_u32_e32 v9, 0x800, v6
	ds_write2_b32 v9, v5, v15 offset0:138 offset1:151
	ds_write2_b32 v9, v10, v14 offset0:164 offset1:177
	ds_write_b32 v6, v36 offset:2808
.LBB0_22:
	s_or_b64 exec, exec, s[2:3]
	v_add_f32_e32 v5, v22, v37
	v_add_f32_e32 v5, v5, v39
	;; [unrolled: 1-line block ×5, first 2 shown]
	v_fma_f32 v42, -0.5, v5, v22
	v_sub_f32_e32 v5, v33, v35
	v_mov_b32_e32 v33, v42
	v_fmac_f32_e32 v33, 0x3f737871, v5
	v_sub_f32_e32 v6, v32, v34
	v_sub_f32_e32 v9, v37, v39
	;; [unrolled: 1-line block ×3, first 2 shown]
	v_fmac_f32_e32 v42, 0xbf737871, v5
	v_fmac_f32_e32 v33, 0x3f167918, v6
	v_add_f32_e32 v9, v9, v10
	v_fmac_f32_e32 v42, 0xbf167918, v6
	v_fmac_f32_e32 v33, 0x3e9e377a, v9
	v_fmac_f32_e32 v42, 0x3e9e377a, v9
	v_add_f32_e32 v9, v37, v43
	v_fmac_f32_e32 v22, -0.5, v9
	v_mov_b32_e32 v32, v22
	v_fmac_f32_e32 v32, 0xbf737871, v6
	v_fmac_f32_e32 v22, 0x3f737871, v6
	;; [unrolled: 1-line block ×4, first 2 shown]
	v_add_f32_e32 v5, v7, v8
	v_add_f32_e32 v5, v5, v16
	;; [unrolled: 1-line block ×5, first 2 shown]
	v_sub_f32_e32 v9, v39, v37
	v_sub_f32_e32 v10, v41, v43
	v_fma_f32 v35, -0.5, v5, v7
	v_add_f32_e32 v9, v9, v10
	v_sub_f32_e32 v5, v28, v30
	v_mov_b32_e32 v28, v35
	v_fmac_f32_e32 v32, 0x3e9e377a, v9
	v_fmac_f32_e32 v22, 0x3e9e377a, v9
	;; [unrolled: 1-line block ×3, first 2 shown]
	v_sub_f32_e32 v6, v13, v29
	v_sub_f32_e32 v9, v8, v16
	;; [unrolled: 1-line block ×3, first 2 shown]
	v_fmac_f32_e32 v35, 0xbf737871, v5
	v_fmac_f32_e32 v28, 0x3f167918, v6
	v_add_f32_e32 v9, v9, v10
	v_fmac_f32_e32 v35, 0xbf167918, v6
	v_fmac_f32_e32 v28, 0x3e9e377a, v9
	;; [unrolled: 1-line block ×3, first 2 shown]
	v_add_f32_e32 v9, v8, v31
	v_fmac_f32_e32 v7, -0.5, v9
	v_mov_b32_e32 v29, v7
	v_fmac_f32_e32 v29, 0xbf737871, v6
	v_sub_f32_e32 v8, v16, v8
	v_sub_f32_e32 v9, v17, v31
	v_fmac_f32_e32 v7, 0x3f737871, v6
	v_fmac_f32_e32 v29, 0x3f167918, v5
	v_add_f32_e32 v8, v8, v9
	v_fmac_f32_e32 v7, 0xbf167918, v5
	v_add_u32_e32 v5, 0x200, v44
	v_fmac_f32_e32 v29, 0x3e9e377a, v8
	v_fmac_f32_e32 v7, 0x3e9e377a, v8
	s_waitcnt lgkmcnt(0)
	s_barrier
	ds_read_b32 v10, v45
	ds_read2_b32 v[14:15], v44 offset0:65 offset1:130
	ds_read2_b32 v[8:9], v5 offset0:67 offset1:132
	v_add_u32_e32 v5, 0x400, v44
	v_add_u32_e32 v12, 0x600, v44
	v_add_u32_e32 v16, 0x800, v44
	ds_read2_b32 v[5:6], v5 offset0:69 offset1:134
	ds_read2_b32 v[12:13], v12 offset0:71 offset1:136
	;; [unrolled: 1-line block ×3, first 2 shown]
	s_waitcnt lgkmcnt(0)
	s_barrier
	ds_write2_b32 v38, v36, v33 offset1:13
	ds_write2_b32 v38, v32, v22 offset0:26 offset1:39
	ds_write_b32 v38, v42 offset:208
	ds_write2_b32 v40, v34, v28 offset1:13
	ds_write2_b32 v40, v29, v7 offset0:26 offset1:39
	ds_write_b32 v40, v35 offset:208
	s_and_saveexec_b64 s[2:3], vcc
	s_cbranch_execz .LBB0_24
; %bb.23:
	v_add_f32_e32 v22, v19, v20
	v_fma_f32 v22, -0.5, v22, v11
	v_sub_f32_e32 v24, v24, v27
	v_mov_b32_e32 v27, v22
	v_fmac_f32_e32 v27, 0x3f737871, v24
	v_sub_f32_e32 v25, v25, v26
	v_sub_f32_e32 v26, v18, v19
	;; [unrolled: 1-line block ×3, first 2 shown]
	v_fmac_f32_e32 v22, 0xbf737871, v24
	v_fmac_f32_e32 v27, 0x3f167918, v25
	v_add_f32_e32 v26, v26, v28
	v_fmac_f32_e32 v22, 0xbf167918, v25
	v_fmac_f32_e32 v27, 0x3e9e377a, v26
	v_fmac_f32_e32 v22, 0x3e9e377a, v26
	v_add_f32_e32 v26, v18, v21
	v_add_f32_e32 v7, v11, v18
	v_fmac_f32_e32 v11, -0.5, v26
	v_mov_b32_e32 v26, v11
	v_add_f32_e32 v7, v7, v19
	v_fmac_f32_e32 v26, 0xbf737871, v25
	v_sub_f32_e32 v18, v19, v18
	v_sub_f32_e32 v19, v20, v21
	v_fmac_f32_e32 v11, 0x3f737871, v25
	v_fmac_f32_e32 v26, 0x3f167918, v24
	v_add_f32_e32 v18, v18, v19
	v_fmac_f32_e32 v11, 0xbf167918, v24
	v_fmac_f32_e32 v26, 0x3e9e377a, v18
	;; [unrolled: 1-line block ×3, first 2 shown]
	v_mov_b32_e32 v18, 2
	v_lshlrev_b32_sdwa v18, v18, v23 dst_sel:DWORD dst_unused:UNUSED_PAD src0_sel:DWORD src1_sel:BYTE_0
	v_add_f32_e32 v7, v7, v20
	v_add3_u32 v0, 0, v18, v0
	v_add_f32_e32 v7, v7, v21
	v_add_u32_e32 v18, 0x800, v0
	ds_write2_b32 v18, v7, v27 offset0:138 offset1:151
	ds_write2_b32 v18, v26, v11 offset0:164 offset1:177
	ds_write_b32 v0, v22 offset:2808
.LBB0_24:
	s_or_b64 exec, exec, s[2:3]
	s_waitcnt lgkmcnt(0)
	s_barrier
	s_and_saveexec_b64 s[2:3], s[0:1]
	s_cbranch_execz .LBB0_26
; %bb.25:
	v_mul_u32_u24_e32 v0, 10, v4
	v_lshlrev_b32_e32 v0, 3, v0
	global_load_dwordx4 v[18:21], v0, s[8:9] offset:416
	global_load_dwordx4 v[22:25], v0, s[8:9] offset:480
	;; [unrolled: 1-line block ×5, first 2 shown]
	ds_read2_b32 v[38:39], v44 offset0:65 offset1:130
	v_add_u32_e32 v0, 0x800, v44
	v_add_u32_e32 v46, 0x400, v44
	ds_read_b32 v4, v45
	v_add_u32_e32 v7, 0x200, v44
	v_add_u32_e32 v11, 0x600, v44
	ds_read2_b32 v[40:41], v0 offset0:73 offset1:138
	ds_read2_b32 v[42:43], v7 offset0:67 offset1:132
	;; [unrolled: 1-line block ×4, first 2 shown]
	s_mov_b32 s0, 0xbf75a155
	s_mov_b32 s1, 0x3f575c64
	;; [unrolled: 1-line block ×5, first 2 shown]
	s_waitcnt vmcnt(4)
	v_mul_f32_e32 v0, v14, v18
	s_waitcnt vmcnt(3)
	v_mul_f32_e32 v48, v17, v24
	v_mul_f32_e32 v49, v15, v20
	;; [unrolled: 1-line block ×3, first 2 shown]
	s_waitcnt vmcnt(2)
	v_mul_f32_e32 v53, v9, v28
	v_mul_f32_e32 v9, v9, v29
	s_waitcnt lgkmcnt(5)
	v_fmac_f32_e32 v0, v38, v19
	s_waitcnt lgkmcnt(3)
	v_fmac_f32_e32 v48, v41, v25
	v_mul_f32_e32 v7, v17, v25
	v_mul_f32_e32 v11, v14, v19
	;; [unrolled: 1-line block ×3, first 2 shown]
	s_waitcnt vmcnt(1)
	v_mul_f32_e32 v52, v13, v32
	v_fmac_f32_e32 v49, v39, v21
	v_fmac_f32_e32 v50, v40, v23
	s_waitcnt lgkmcnt(2)
	v_fma_f32 v9, v43, v28, -v9
	v_sub_f32_e32 v28, v0, v48
	v_mul_f32_e32 v14, v16, v23
	v_mul_f32_e32 v15, v15, v21
	v_mul_f32_e32 v8, v8, v27
	v_mul_f32_e32 v54, v12, v30
	v_mul_f32_e32 v12, v12, v31
	s_waitcnt vmcnt(0)
	v_mul_f32_e32 v55, v5, v34
	v_mul_f32_e32 v5, v5, v35
	v_fma_f32 v19, v41, v24, -v7
	v_fma_f32 v24, v38, v18, -v11
	v_fmac_f32_e32 v51, v42, v27
	s_waitcnt lgkmcnt(1)
	v_fmac_f32_e32 v52, v45, v33
	v_fmac_f32_e32 v53, v43, v29
	v_sub_f32_e32 v29, v49, v50
	v_mul_f32_e32 v7, 0xbe903f40, v28
	v_mul_f32_e32 v13, v13, v33
	;; [unrolled: 1-line block ×4, first 2 shown]
	v_fma_f32 v21, v40, v22, -v14
	v_fma_f32 v20, v39, v20, -v15
	v_fma_f32 v23, v42, v26, -v8
	v_fmac_f32_e32 v54, v44, v31
	v_fma_f32 v25, v44, v30, -v12
	s_waitcnt lgkmcnt(0)
	v_fma_f32 v27, v46, v34, -v5
	v_add_f32_e32 v17, v24, v19
	v_sub_f32_e32 v30, v51, v52
	v_mul_f32_e32 v8, 0x3f0a6770, v29
	v_mov_b32_e32 v5, v7
	v_fma_f32 v22, v45, v32, -v13
	v_fmac_f32_e32 v55, v46, v35
	v_fmac_f32_e32 v56, v47, v37
	v_fma_f32 v26, v47, v36, -v6
	v_add_f32_e32 v18, v20, v21
	v_sub_f32_e32 v32, v53, v54
	v_mul_f32_e32 v11, 0xbf4178ce, v30
	v_mov_b32_e32 v6, v8
	v_fmac_f32_e32 v5, 0xbf75a155, v17
	v_add_f32_e32 v31, v23, v22
	v_sub_f32_e32 v34, v55, v56
	v_mul_f32_e32 v12, 0x3f68dda4, v32
	v_mov_b32_e32 v14, v11
	v_fmac_f32_e32 v6, 0x3f575c64, v18
	v_add_f32_e32 v5, v4, v5
	v_add_f32_e32 v33, v9, v25
	v_mul_f32_e32 v13, 0xbf7d64f0, v34
	v_mov_b32_e32 v15, v12
	v_fmac_f32_e32 v14, 0xbf27a4f4, v31
	v_add_f32_e32 v5, v5, v6
	v_add_f32_e32 v35, v27, v26
	v_mov_b32_e32 v16, v13
	v_fmac_f32_e32 v15, 0x3ed4b147, v33
	v_add_f32_e32 v5, v5, v14
	v_sub_f32_e32 v37, v24, v19
	v_add_f32_e32 v36, v0, v48
	v_fmac_f32_e32 v16, 0xbe11bafb, v35
	v_add_f32_e32 v5, v5, v15
	v_mul_f32_e32 v14, 0xbe903f40, v37
	v_sub_f32_e32 v39, v20, v21
	v_fma_f32 v7, v17, s0, -v7
	v_add_f32_e32 v6, v5, v16
	v_fma_f32 v5, v36, s0, -v14
	v_add_f32_e32 v38, v49, v50
	v_mul_f32_e32 v15, 0x3f0a6770, v39
	v_add_f32_e32 v7, v4, v7
	v_fma_f32 v8, v18, s1, -v8
	v_add_f32_e32 v5, v10, v5
	v_fma_f32 v16, v38, s1, -v15
	v_sub_f32_e32 v41, v23, v22
	v_add_f32_e32 v7, v7, v8
	v_fma_f32 v8, v31, s2, -v11
	v_add_f32_e32 v5, v5, v16
	v_add_f32_e32 v40, v51, v52
	v_mul_f32_e32 v16, 0xbf4178ce, v41
	v_add_f32_e32 v7, v7, v8
	v_fma_f32 v8, v33, s3, -v12
	v_fma_f32 v42, v40, s2, -v16
	v_sub_f32_e32 v43, v9, v25
	v_add_f32_e32 v7, v7, v8
	v_fma_f32 v8, v35, s4, -v13
	v_fmac_f32_e32 v14, 0xbf75a155, v36
	v_add_f32_e32 v5, v5, v42
	v_add_f32_e32 v42, v53, v54
	v_mul_f32_e32 v44, 0x3f68dda4, v43
	v_add_f32_e32 v8, v7, v8
	v_add_f32_e32 v7, v10, v14
	v_fmac_f32_e32 v15, 0x3f575c64, v38
	v_fma_f32 v45, v42, s3, -v44
	v_sub_f32_e32 v46, v27, v26
	v_add_f32_e32 v7, v7, v15
	v_fmac_f32_e32 v16, 0xbf27a4f4, v40
	v_add_f32_e32 v5, v5, v45
	v_add_f32_e32 v45, v55, v56
	v_mul_f32_e32 v47, 0xbf7d64f0, v46
	v_add_f32_e32 v7, v7, v16
	v_fmac_f32_e32 v44, 0x3ed4b147, v42
	v_fma_f32 v57, v45, s4, -v47
	v_add_f32_e32 v7, v7, v44
	v_fmac_f32_e32 v47, 0xbe11bafb, v45
	v_mul_f32_e32 v44, 0xbf27a4f4, v17
	v_add_f32_e32 v7, v7, v47
	v_mov_b32_e32 v11, v44
	v_mul_f32_e32 v47, 0xbe11bafb, v18
	v_fmac_f32_e32 v11, 0x3f4178ce, v28
	v_mov_b32_e32 v12, v47
	v_add_f32_e32 v5, v5, v57
	v_add_f32_e32 v11, v4, v11
	v_fmac_f32_e32 v12, 0xbf7d64f0, v29
	v_mul_f32_e32 v57, 0x3f575c64, v31
	v_add_f32_e32 v11, v11, v12
	v_mov_b32_e32 v12, v57
	v_fmac_f32_e32 v12, 0x3f0a6770, v30
	v_mul_f32_e32 v58, 0xbf75a155, v33
	v_add_f32_e32 v11, v11, v12
	v_mov_b32_e32 v12, v58
	;; [unrolled: 4-line block ×4, first 2 shown]
	v_mul_f32_e32 v61, 0x3f7d64f0, v39
	v_fmac_f32_e32 v11, 0xbf27a4f4, v36
	v_mov_b32_e32 v13, v61
	v_add_f32_e32 v11, v10, v11
	v_fmac_f32_e32 v13, 0xbe11bafb, v38
	v_mul_f32_e32 v62, 0xbf0a6770, v41
	v_add_f32_e32 v11, v11, v13
	v_mov_b32_e32 v13, v62
	v_fmac_f32_e32 v13, 0x3f575c64, v40
	v_mul_f32_e32 v63, 0xbe903f40, v43
	v_add_f32_e32 v11, v11, v13
	v_mov_b32_e32 v13, v63
	;; [unrolled: 4-line block ×4, first 2 shown]
	v_mul_f32_e32 v66, 0xbf75a155, v18
	v_fmac_f32_e32 v13, 0x3f7d64f0, v28
	v_mov_b32_e32 v14, v66
	v_add_f32_e32 v13, v4, v13
	v_fmac_f32_e32 v14, 0xbe903f40, v29
	v_mul_f32_e32 v67, 0x3ed4b147, v31
	v_add_f32_e32 v13, v13, v14
	v_mov_b32_e32 v14, v67
	v_fmac_f32_e32 v14, 0xbf68dda4, v30
	v_mul_f32_e32 v68, 0x3f575c64, v33
	v_add_f32_e32 v13, v13, v14
	v_mov_b32_e32 v14, v68
	;; [unrolled: 4-line block ×3, first 2 shown]
	v_mul_f32_e32 v70, 0x3e903f40, v39
	v_fmac_f32_e32 v14, 0xbe11bafb, v36
	v_mov_b32_e32 v15, v70
	v_add_f32_e32 v14, v10, v14
	v_fmac_f32_e32 v15, 0xbf75a155, v38
	v_mul_f32_e32 v71, 0x3f68dda4, v41
	v_add_f32_e32 v14, v14, v15
	v_mov_b32_e32 v15, v71
	v_fmac_f32_e32 v15, 0x3ed4b147, v40
	v_mul_f32_e32 v72, 0xbf0a6770, v43
	v_add_f32_e32 v14, v14, v15
	v_mov_b32_e32 v15, v72
	;; [unrolled: 4-line block ×3, first 2 shown]
	v_add_f32_e32 v24, v24, v4
	v_add_f32_e32 v0, v10, v0
	v_fmac_f32_e32 v14, 0x3f4178ce, v34
	v_mul_f32_e32 v74, 0xbf4178ce, v46
	v_add_f32_e32 v20, v24, v20
	v_add_f32_e32 v0, v0, v49
	;; [unrolled: 1-line block ×3, first 2 shown]
	v_mov_b32_e32 v13, v74
	v_add_f32_e32 v20, v20, v23
	v_add_f32_e32 v0, v0, v51
	v_fmac_f32_e32 v13, 0xbf27a4f4, v45
	v_mul_f32_e32 v75, 0x3ed4b147, v17
	v_add_f32_e32 v9, v20, v9
	v_add_f32_e32 v0, v0, v53
	;; [unrolled: 1-line block ×3, first 2 shown]
	v_mov_b32_e32 v15, v75
	v_mul_f32_e32 v76, 0xbf27a4f4, v18
	v_add_f32_e32 v9, v9, v27
	v_add_f32_e32 v0, v0, v55
	v_fmac_f32_e32 v15, 0x3f68dda4, v28
	v_mov_b32_e32 v16, v76
	v_add_f32_e32 v9, v9, v26
	v_add_f32_e32 v0, v0, v56
	;; [unrolled: 1-line block ×3, first 2 shown]
	v_fmac_f32_e32 v16, 0x3f4178ce, v29
	v_mul_f32_e32 v77, 0xbf75a155, v31
	v_add_f32_e32 v9, v25, v9
	v_add_f32_e32 v0, v54, v0
	;; [unrolled: 1-line block ×3, first 2 shown]
	v_mov_b32_e32 v16, v77
	v_add_f32_e32 v9, v22, v9
	v_add_f32_e32 v0, v52, v0
	v_fmac_f32_e32 v16, 0xbe903f40, v30
	v_mul_f32_e32 v78, 0xbe11bafb, v33
	v_add_f32_e32 v9, v21, v9
	v_add_f32_e32 v0, v50, v0
	v_fmac_f32_e32 v44, 0xbf4178ce, v28
	v_add_f32_e32 v15, v15, v16
	v_mov_b32_e32 v16, v78
	v_add_f32_e32 v20, v19, v9
	v_add_f32_e32 v19, v48, v0
	;; [unrolled: 1-line block ×3, first 2 shown]
	v_fmac_f32_e32 v47, 0x3f7d64f0, v29
	v_fmac_f32_e32 v16, 0xbf7d64f0, v32
	v_mul_f32_e32 v79, 0xbf68dda4, v37
	v_add_f32_e32 v0, v0, v47
	v_fmac_f32_e32 v57, 0xbf0a6770, v30
	v_add_f32_e32 v15, v15, v16
	v_mov_b32_e32 v16, v79
	v_mul_f32_e32 v80, 0xbf4178ce, v39
	v_add_f32_e32 v0, v0, v57
	v_fmac_f32_e32 v58, 0xbe903f40, v32
	v_fmac_f32_e32 v16, 0x3ed4b147, v36
	v_mov_b32_e32 v81, v80
	v_add_f32_e32 v0, v0, v58
	v_fmac_f32_e32 v59, 0x3f68dda4, v34
	v_add_f32_e32 v16, v10, v16
	v_fmac_f32_e32 v81, 0xbf27a4f4, v38
	v_add_f32_e32 v22, v0, v59
	v_fma_f32 v0, v36, s2, -v60
	v_add_f32_e32 v16, v16, v81
	v_mul_f32_e32 v81, 0x3e903f40, v41
	v_add_f32_e32 v0, v10, v0
	v_fma_f32 v9, v38, s4, -v61
	v_mov_b32_e32 v82, v81
	v_add_f32_e32 v0, v0, v9
	v_fma_f32 v9, v40, s1, -v62
	v_fmac_f32_e32 v82, 0xbf75a155, v40
	v_add_f32_e32 v0, v0, v9
	v_fma_f32 v9, v42, s0, -v63
	v_add_f32_e32 v16, v16, v82
	v_mul_f32_e32 v82, 0x3f7d64f0, v43
	v_add_f32_e32 v0, v0, v9
	v_fma_f32 v9, v45, s3, -v64
	v_fmac_f32_e32 v65, 0xbf7d64f0, v28
	v_mov_b32_e32 v83, v82
	v_add_f32_e32 v21, v0, v9
	v_add_f32_e32 v0, v4, v65
	v_fmac_f32_e32 v66, 0x3e903f40, v29
	v_fmac_f32_e32 v83, 0xbe11bafb, v42
	v_mul_f32_e32 v84, 0x3f575c64, v35
	v_add_f32_e32 v0, v0, v66
	v_fmac_f32_e32 v67, 0x3f68dda4, v30
	v_add_f32_e32 v83, v16, v83
	v_mov_b32_e32 v16, v84
	v_add_f32_e32 v0, v0, v67
	v_fmac_f32_e32 v68, 0xbf0a6770, v32
	v_fmac_f32_e32 v16, 0xbf0a6770, v34
	v_mul_f32_e32 v85, 0x3f0a6770, v46
	v_add_f32_e32 v0, v0, v68
	v_fmac_f32_e32 v73, 0xbf4178ce, v34
	v_add_f32_e32 v16, v15, v16
	v_mov_b32_e32 v15, v85
	v_add_f32_e32 v24, v0, v73
	v_fma_f32 v0, v36, s4, -v69
	v_fmac_f32_e32 v15, 0x3f575c64, v45
	v_add_f32_e32 v0, v10, v0
	v_fma_f32 v9, v38, s0, -v70
	v_add_f32_e32 v15, v83, v15
	v_mul_f32_e32 v83, 0x3f575c64, v17
	v_add_f32_e32 v0, v0, v9
	v_fma_f32 v9, v40, s3, -v71
	v_mov_b32_e32 v17, v83
	v_mul_f32_e32 v86, 0x3ed4b147, v18
	v_add_f32_e32 v0, v0, v9
	v_fma_f32 v9, v42, s1, -v72
	v_fmac_f32_e32 v17, 0x3f0a6770, v28
	v_mov_b32_e32 v18, v86
	v_add_f32_e32 v0, v0, v9
	v_fma_f32 v9, v45, s2, -v74
	v_fmac_f32_e32 v75, 0xbf68dda4, v28
	v_add_f32_e32 v17, v4, v17
	v_fmac_f32_e32 v18, 0x3f68dda4, v29
	v_mul_f32_e32 v31, 0xbe11bafb, v31
	v_add_f32_e32 v23, v0, v9
	v_add_f32_e32 v0, v4, v75
	v_fmac_f32_e32 v76, 0xbf4178ce, v29
	v_add_f32_e32 v17, v17, v18
	v_mov_b32_e32 v18, v31
	v_add_f32_e32 v0, v0, v76
	v_fmac_f32_e32 v77, 0x3e903f40, v30
	v_fmac_f32_e32 v18, 0x3f7d64f0, v30
	v_mul_f32_e32 v33, 0xbf27a4f4, v33
	v_add_f32_e32 v0, v0, v77
	v_fmac_f32_e32 v78, 0x3f7d64f0, v32
	v_add_f32_e32 v17, v17, v18
	v_mov_b32_e32 v18, v33
	v_add_f32_e32 v0, v0, v78
	v_fmac_f32_e32 v84, 0x3f0a6770, v34
	v_fmac_f32_e32 v18, 0x3f4178ce, v32
	v_mul_f32_e32 v37, 0xbf0a6770, v37
	v_add_f32_e32 v26, v0, v84
	v_fma_f32 v0, v36, s3, -v79
	v_add_f32_e32 v17, v17, v18
	v_mov_b32_e32 v18, v37
	v_mul_f32_e32 v39, 0xbf68dda4, v39
	v_add_f32_e32 v0, v10, v0
	v_fma_f32 v9, v38, s2, -v80
	v_fmac_f32_e32 v18, 0x3f575c64, v36
	v_mov_b32_e32 v87, v39
	v_add_f32_e32 v0, v0, v9
	v_fma_f32 v9, v40, s0, -v81
	v_add_f32_e32 v18, v10, v18
	v_fmac_f32_e32 v87, 0x3ed4b147, v38
	v_mul_f32_e32 v41, 0xbf7d64f0, v41
	v_add_f32_e32 v0, v0, v9
	v_fma_f32 v9, v42, s4, -v82
	v_add_f32_e32 v18, v18, v87
	v_mov_b32_e32 v87, v41
	v_add_f32_e32 v0, v0, v9
	v_fma_f32 v9, v45, s1, -v85
	v_fmac_f32_e32 v83, 0xbf0a6770, v28
	v_fmac_f32_e32 v87, 0xbe11bafb, v40
	v_mul_f32_e32 v43, 0xbf4178ce, v43
	v_add_f32_e32 v25, v0, v9
	v_add_f32_e32 v0, v4, v83
	v_fmac_f32_e32 v86, 0xbf68dda4, v29
	v_add_f32_e32 v18, v18, v87
	v_mov_b32_e32 v87, v43
	v_add_f32_e32 v0, v0, v86
	v_fmac_f32_e32 v31, 0xbf7d64f0, v30
	v_fmac_f32_e32 v87, 0xbf27a4f4, v42
	v_mul_f32_e32 v35, 0xbf75a155, v35
	v_add_f32_e32 v0, v0, v31
	v_fmac_f32_e32 v33, 0xbf4178ce, v32
	v_add_f32_e32 v87, v18, v87
	v_mov_b32_e32 v18, v35
	v_add_f32_e32 v0, v0, v33
	v_fmac_f32_e32 v35, 0xbe903f40, v34
	v_add_f32_e32 v28, v0, v35
	v_fma_f32 v0, v36, s1, -v37
	v_add_f32_e32 v0, v10, v0
	v_fma_f32 v4, v38, s3, -v39
	;; [unrolled: 2-line block ×3, first 2 shown]
	v_mul_f32_e32 v46, 0xbe903f40, v46
	v_add_f32_e32 v0, v0, v4
	v_fma_f32 v4, v42, s2, -v43
	v_add_f32_e32 v0, v0, v4
	v_fma_f32 v4, v45, s0, -v46
	v_add_f32_e32 v27, v0, v4
	v_lshlrev_b64 v[0:1], 3, v[1:2]
	v_mov_b32_e32 v4, 0
	v_mov_b32_e32 v2, s13
	v_add_co_u32_e32 v9, vcc, s12, v0
	v_addc_co_u32_e32 v2, vcc, v2, v1, vcc
	v_lshlrev_b64 v[0:1], 3, v[3:4]
	v_fmac_f32_e32 v18, 0x3e903f40, v34
	v_add_f32_e32 v18, v17, v18
	v_mov_b32_e32 v17, v46
	v_add_co_u32_e32 v0, vcc, v9, v0
	v_fmac_f32_e32 v17, 0xbf75a155, v45
	v_addc_co_u32_e32 v1, vcc, v2, v1, vcc
	v_add_f32_e32 v17, v87, v17
	global_store_dwordx2 v[0:1], v[19:20], off
	global_store_dwordx2 v[0:1], v[17:18], off offset:520
	global_store_dwordx2 v[0:1], v[15:16], off offset:1040
	;; [unrolled: 1-line block ×7, first 2 shown]
	v_add_co_u32_e32 v0, vcc, 0x1000, v0
	v_addc_co_u32_e32 v1, vcc, 0, v1, vcc
	global_store_dwordx2 v[0:1], v[23:24], off offset:64
	global_store_dwordx2 v[0:1], v[25:26], off offset:584
	;; [unrolled: 1-line block ×3, first 2 shown]
.LBB0_26:
	s_endpgm
	.section	.rodata,"a",@progbits
	.p2align	6, 0x0
	.amdhsa_kernel fft_rtc_back_len715_factors_13_5_11_wgs_195_tpt_65_halfLds_sp_ip_CI_unitstride_sbrr_dirReg
		.amdhsa_group_segment_fixed_size 0
		.amdhsa_private_segment_fixed_size 0
		.amdhsa_kernarg_size 88
		.amdhsa_user_sgpr_count 6
		.amdhsa_user_sgpr_private_segment_buffer 1
		.amdhsa_user_sgpr_dispatch_ptr 0
		.amdhsa_user_sgpr_queue_ptr 0
		.amdhsa_user_sgpr_kernarg_segment_ptr 1
		.amdhsa_user_sgpr_dispatch_id 0
		.amdhsa_user_sgpr_flat_scratch_init 0
		.amdhsa_user_sgpr_private_segment_size 0
		.amdhsa_uses_dynamic_stack 0
		.amdhsa_system_sgpr_private_segment_wavefront_offset 0
		.amdhsa_system_sgpr_workgroup_id_x 1
		.amdhsa_system_sgpr_workgroup_id_y 0
		.amdhsa_system_sgpr_workgroup_id_z 0
		.amdhsa_system_sgpr_workgroup_info 0
		.amdhsa_system_vgpr_workitem_id 0
		.amdhsa_next_free_vgpr 88
		.amdhsa_next_free_sgpr 22
		.amdhsa_reserve_vcc 1
		.amdhsa_reserve_flat_scratch 0
		.amdhsa_float_round_mode_32 0
		.amdhsa_float_round_mode_16_64 0
		.amdhsa_float_denorm_mode_32 3
		.amdhsa_float_denorm_mode_16_64 3
		.amdhsa_dx10_clamp 1
		.amdhsa_ieee_mode 1
		.amdhsa_fp16_overflow 0
		.amdhsa_exception_fp_ieee_invalid_op 0
		.amdhsa_exception_fp_denorm_src 0
		.amdhsa_exception_fp_ieee_div_zero 0
		.amdhsa_exception_fp_ieee_overflow 0
		.amdhsa_exception_fp_ieee_underflow 0
		.amdhsa_exception_fp_ieee_inexact 0
		.amdhsa_exception_int_div_zero 0
	.end_amdhsa_kernel
	.text
.Lfunc_end0:
	.size	fft_rtc_back_len715_factors_13_5_11_wgs_195_tpt_65_halfLds_sp_ip_CI_unitstride_sbrr_dirReg, .Lfunc_end0-fft_rtc_back_len715_factors_13_5_11_wgs_195_tpt_65_halfLds_sp_ip_CI_unitstride_sbrr_dirReg
                                        ; -- End function
	.section	.AMDGPU.csdata,"",@progbits
; Kernel info:
; codeLenInByte = 9012
; NumSgprs: 26
; NumVgprs: 88
; ScratchSize: 0
; MemoryBound: 0
; FloatMode: 240
; IeeeMode: 1
; LDSByteSize: 0 bytes/workgroup (compile time only)
; SGPRBlocks: 3
; VGPRBlocks: 21
; NumSGPRsForWavesPerEU: 26
; NumVGPRsForWavesPerEU: 88
; Occupancy: 2
; WaveLimiterHint : 1
; COMPUTE_PGM_RSRC2:SCRATCH_EN: 0
; COMPUTE_PGM_RSRC2:USER_SGPR: 6
; COMPUTE_PGM_RSRC2:TRAP_HANDLER: 0
; COMPUTE_PGM_RSRC2:TGID_X_EN: 1
; COMPUTE_PGM_RSRC2:TGID_Y_EN: 0
; COMPUTE_PGM_RSRC2:TGID_Z_EN: 0
; COMPUTE_PGM_RSRC2:TIDIG_COMP_CNT: 0
	.type	__hip_cuid_7514322d0d333341,@object ; @__hip_cuid_7514322d0d333341
	.section	.bss,"aw",@nobits
	.globl	__hip_cuid_7514322d0d333341
__hip_cuid_7514322d0d333341:
	.byte	0                               ; 0x0
	.size	__hip_cuid_7514322d0d333341, 1

	.ident	"AMD clang version 19.0.0git (https://github.com/RadeonOpenCompute/llvm-project roc-6.4.0 25133 c7fe45cf4b819c5991fe208aaa96edf142730f1d)"
	.section	".note.GNU-stack","",@progbits
	.addrsig
	.addrsig_sym __hip_cuid_7514322d0d333341
	.amdgpu_metadata
---
amdhsa.kernels:
  - .args:
      - .actual_access:  read_only
        .address_space:  global
        .offset:         0
        .size:           8
        .value_kind:     global_buffer
      - .offset:         8
        .size:           8
        .value_kind:     by_value
      - .actual_access:  read_only
        .address_space:  global
        .offset:         16
        .size:           8
        .value_kind:     global_buffer
      - .actual_access:  read_only
        .address_space:  global
        .offset:         24
        .size:           8
        .value_kind:     global_buffer
      - .offset:         32
        .size:           8
        .value_kind:     by_value
      - .actual_access:  read_only
        .address_space:  global
        .offset:         40
        .size:           8
        .value_kind:     global_buffer
      - .actual_access:  read_only
        .address_space:  global
        .offset:         48
        .size:           8
        .value_kind:     global_buffer
      - .offset:         56
        .size:           4
        .value_kind:     by_value
      - .actual_access:  read_only
        .address_space:  global
        .offset:         64
        .size:           8
        .value_kind:     global_buffer
      - .actual_access:  read_only
        .address_space:  global
        .offset:         72
        .size:           8
        .value_kind:     global_buffer
      - .address_space:  global
        .offset:         80
        .size:           8
        .value_kind:     global_buffer
    .group_segment_fixed_size: 0
    .kernarg_segment_align: 8
    .kernarg_segment_size: 88
    .language:       OpenCL C
    .language_version:
      - 2
      - 0
    .max_flat_workgroup_size: 195
    .name:           fft_rtc_back_len715_factors_13_5_11_wgs_195_tpt_65_halfLds_sp_ip_CI_unitstride_sbrr_dirReg
    .private_segment_fixed_size: 0
    .sgpr_count:     26
    .sgpr_spill_count: 0
    .symbol:         fft_rtc_back_len715_factors_13_5_11_wgs_195_tpt_65_halfLds_sp_ip_CI_unitstride_sbrr_dirReg.kd
    .uniform_work_group_size: 1
    .uses_dynamic_stack: false
    .vgpr_count:     88
    .vgpr_spill_count: 0
    .wavefront_size: 64
amdhsa.target:   amdgcn-amd-amdhsa--gfx906
amdhsa.version:
  - 1
  - 2
...

	.end_amdgpu_metadata
